;; amdgpu-corpus repo=ROCm/rocFFT kind=compiled arch=gfx1030 opt=O3
	.text
	.amdgcn_target "amdgcn-amd-amdhsa--gfx1030"
	.amdhsa_code_object_version 6
	.protected	fft_rtc_fwd_len60_factors_6_10_wgs_60_tpt_10_halfLds_dp_op_CI_CI_unitstride_sbrr_dirReg ; -- Begin function fft_rtc_fwd_len60_factors_6_10_wgs_60_tpt_10_halfLds_dp_op_CI_CI_unitstride_sbrr_dirReg
	.globl	fft_rtc_fwd_len60_factors_6_10_wgs_60_tpt_10_halfLds_dp_op_CI_CI_unitstride_sbrr_dirReg
	.p2align	8
	.type	fft_rtc_fwd_len60_factors_6_10_wgs_60_tpt_10_halfLds_dp_op_CI_CI_unitstride_sbrr_dirReg,@function
fft_rtc_fwd_len60_factors_6_10_wgs_60_tpt_10_halfLds_dp_op_CI_CI_unitstride_sbrr_dirReg: ; @fft_rtc_fwd_len60_factors_6_10_wgs_60_tpt_10_halfLds_dp_op_CI_CI_unitstride_sbrr_dirReg
; %bb.0:
	s_load_dwordx4 s[12:15], s[4:5], 0x0
	v_mul_u32_u24_e32 v1, 0x199a, v0
	s_clause 0x1
	s_load_dwordx4 s[8:11], s[4:5], 0x58
	s_load_dwordx4 s[16:19], s[4:5], 0x18
	v_mov_b32_e32 v3, 0
	v_lshrrev_b32_e32 v4, 16, v1
	v_mov_b32_e32 v1, 0
	v_mov_b32_e32 v2, 0
	v_mad_u64_u32 v[6:7], null, s6, 6, v[4:5]
	v_mov_b32_e32 v7, v3
	v_mov_b32_e32 v43, v2
	;; [unrolled: 1-line block ×5, first 2 shown]
	s_waitcnt lgkmcnt(0)
	v_cmp_lt_u64_e64 s0, s[14:15], 2
	s_and_b32 vcc_lo, exec_lo, s0
	s_cbranch_vccnz .LBB0_8
; %bb.1:
	s_load_dwordx2 s[0:1], s[4:5], 0x10
	v_mov_b32_e32 v1, 0
	v_mov_b32_e32 v2, 0
	s_add_u32 s2, s18, 8
	v_mov_b32_e32 v8, v7
	s_addc_u32 s3, s19, 0
	v_mov_b32_e32 v7, v6
	v_mov_b32_e32 v43, v2
	s_add_u32 s6, s16, 8
	v_mov_b32_e32 v42, v1
	s_addc_u32 s7, s17, 0
	s_mov_b64 s[22:23], 1
	s_waitcnt lgkmcnt(0)
	s_add_u32 s20, s0, 8
	s_addc_u32 s21, s1, 0
.LBB0_2:                                ; =>This Inner Loop Header: Depth=1
	s_load_dwordx2 s[24:25], s[20:21], 0x0
                                        ; implicit-def: $vgpr45_vgpr46
	s_mov_b32 s0, exec_lo
	s_waitcnt lgkmcnt(0)
	v_or_b32_e32 v4, s25, v8
	v_cmpx_ne_u64_e32 0, v[3:4]
	s_xor_b32 s1, exec_lo, s0
	s_cbranch_execz .LBB0_4
; %bb.3:                                ;   in Loop: Header=BB0_2 Depth=1
	v_cvt_f32_u32_e32 v4, s24
	v_cvt_f32_u32_e32 v5, s25
	s_sub_u32 s0, 0, s24
	s_subb_u32 s26, 0, s25
	v_fmac_f32_e32 v4, 0x4f800000, v5
	v_rcp_f32_e32 v4, v4
	v_mul_f32_e32 v4, 0x5f7ffffc, v4
	v_mul_f32_e32 v5, 0x2f800000, v4
	v_trunc_f32_e32 v5, v5
	v_fmac_f32_e32 v4, 0xcf800000, v5
	v_cvt_u32_f32_e32 v5, v5
	v_cvt_u32_f32_e32 v4, v4
	v_mul_lo_u32 v9, s0, v5
	v_mul_hi_u32 v10, s0, v4
	v_mul_lo_u32 v11, s26, v4
	v_add_nc_u32_e32 v9, v10, v9
	v_mul_lo_u32 v10, s0, v4
	v_add_nc_u32_e32 v9, v9, v11
	v_mul_hi_u32 v11, v4, v10
	v_mul_lo_u32 v12, v4, v9
	v_mul_hi_u32 v13, v4, v9
	v_mul_hi_u32 v14, v5, v10
	v_mul_lo_u32 v10, v5, v10
	v_mul_hi_u32 v15, v5, v9
	v_mul_lo_u32 v9, v5, v9
	v_add_co_u32 v11, vcc_lo, v11, v12
	v_add_co_ci_u32_e32 v12, vcc_lo, 0, v13, vcc_lo
	v_add_co_u32 v10, vcc_lo, v11, v10
	v_add_co_ci_u32_e32 v10, vcc_lo, v12, v14, vcc_lo
	v_add_co_ci_u32_e32 v11, vcc_lo, 0, v15, vcc_lo
	v_add_co_u32 v9, vcc_lo, v10, v9
	v_add_co_ci_u32_e32 v10, vcc_lo, 0, v11, vcc_lo
	v_add_co_u32 v4, vcc_lo, v4, v9
	v_add_co_ci_u32_e32 v5, vcc_lo, v5, v10, vcc_lo
	v_mul_hi_u32 v9, s0, v4
	v_mul_lo_u32 v11, s26, v4
	v_mul_lo_u32 v10, s0, v5
	v_add_nc_u32_e32 v9, v9, v10
	v_mul_lo_u32 v10, s0, v4
	v_add_nc_u32_e32 v9, v9, v11
	v_mul_hi_u32 v11, v4, v10
	v_mul_lo_u32 v12, v4, v9
	v_mul_hi_u32 v13, v4, v9
	v_mul_hi_u32 v14, v5, v10
	v_mul_lo_u32 v10, v5, v10
	v_mul_hi_u32 v15, v5, v9
	v_mul_lo_u32 v9, v5, v9
	v_add_co_u32 v11, vcc_lo, v11, v12
	v_add_co_ci_u32_e32 v12, vcc_lo, 0, v13, vcc_lo
	v_add_co_u32 v10, vcc_lo, v11, v10
	v_add_co_ci_u32_e32 v10, vcc_lo, v12, v14, vcc_lo
	v_add_co_ci_u32_e32 v11, vcc_lo, 0, v15, vcc_lo
	v_add_co_u32 v9, vcc_lo, v10, v9
	v_add_co_ci_u32_e32 v10, vcc_lo, 0, v11, vcc_lo
	v_add_co_u32 v9, vcc_lo, v4, v9
	v_add_co_ci_u32_e32 v11, vcc_lo, v5, v10, vcc_lo
	v_mul_hi_u32 v13, v7, v9
	v_mad_u64_u32 v[9:10], null, v8, v9, 0
	v_mad_u64_u32 v[4:5], null, v7, v11, 0
	;; [unrolled: 1-line block ×3, first 2 shown]
	v_add_co_u32 v4, vcc_lo, v13, v4
	v_add_co_ci_u32_e32 v5, vcc_lo, 0, v5, vcc_lo
	v_add_co_u32 v4, vcc_lo, v4, v9
	v_add_co_ci_u32_e32 v4, vcc_lo, v5, v10, vcc_lo
	v_add_co_ci_u32_e32 v5, vcc_lo, 0, v12, vcc_lo
	v_add_co_u32 v9, vcc_lo, v4, v11
	v_add_co_ci_u32_e32 v10, vcc_lo, 0, v5, vcc_lo
	v_mul_lo_u32 v11, s25, v9
	v_mad_u64_u32 v[4:5], null, s24, v9, 0
	v_mul_lo_u32 v12, s24, v10
	v_sub_co_u32 v4, vcc_lo, v7, v4
	v_add3_u32 v5, v5, v12, v11
	v_sub_nc_u32_e32 v11, v8, v5
	v_subrev_co_ci_u32_e64 v11, s0, s25, v11, vcc_lo
	v_add_co_u32 v12, s0, v9, 2
	v_add_co_ci_u32_e64 v13, s0, 0, v10, s0
	v_sub_co_u32 v14, s0, v4, s24
	v_sub_co_ci_u32_e32 v5, vcc_lo, v8, v5, vcc_lo
	v_subrev_co_ci_u32_e64 v11, s0, 0, v11, s0
	v_cmp_le_u32_e32 vcc_lo, s24, v14
	v_cmp_eq_u32_e64 s0, s25, v5
	v_cndmask_b32_e64 v14, 0, -1, vcc_lo
	v_cmp_le_u32_e32 vcc_lo, s25, v11
	v_cndmask_b32_e64 v15, 0, -1, vcc_lo
	v_cmp_le_u32_e32 vcc_lo, s24, v4
	;; [unrolled: 2-line block ×3, first 2 shown]
	v_cndmask_b32_e64 v16, 0, -1, vcc_lo
	v_cmp_eq_u32_e32 vcc_lo, s25, v11
	v_cndmask_b32_e64 v4, v16, v4, s0
	v_cndmask_b32_e32 v11, v15, v14, vcc_lo
	v_add_co_u32 v14, vcc_lo, v9, 1
	v_add_co_ci_u32_e32 v15, vcc_lo, 0, v10, vcc_lo
	v_cmp_ne_u32_e32 vcc_lo, 0, v11
	v_cndmask_b32_e32 v5, v15, v13, vcc_lo
	v_cndmask_b32_e32 v11, v14, v12, vcc_lo
	v_cmp_ne_u32_e32 vcc_lo, 0, v4
	v_cndmask_b32_e32 v46, v10, v5, vcc_lo
	v_cndmask_b32_e32 v45, v9, v11, vcc_lo
.LBB0_4:                                ;   in Loop: Header=BB0_2 Depth=1
	s_andn2_saveexec_b32 s0, s1
	s_cbranch_execz .LBB0_6
; %bb.5:                                ;   in Loop: Header=BB0_2 Depth=1
	v_cvt_f32_u32_e32 v4, s24
	s_sub_i32 s1, 0, s24
	v_mov_b32_e32 v46, v3
	v_rcp_iflag_f32_e32 v4, v4
	v_mul_f32_e32 v4, 0x4f7ffffe, v4
	v_cvt_u32_f32_e32 v4, v4
	v_mul_lo_u32 v5, s1, v4
	v_mul_hi_u32 v5, v4, v5
	v_add_nc_u32_e32 v4, v4, v5
	v_mul_hi_u32 v4, v7, v4
	v_mul_lo_u32 v5, v4, s24
	v_add_nc_u32_e32 v9, 1, v4
	v_sub_nc_u32_e32 v5, v7, v5
	v_subrev_nc_u32_e32 v10, s24, v5
	v_cmp_le_u32_e32 vcc_lo, s24, v5
	v_cndmask_b32_e32 v5, v5, v10, vcc_lo
	v_cndmask_b32_e32 v4, v4, v9, vcc_lo
	v_cmp_le_u32_e32 vcc_lo, s24, v5
	v_add_nc_u32_e32 v9, 1, v4
	v_cndmask_b32_e32 v45, v4, v9, vcc_lo
.LBB0_6:                                ;   in Loop: Header=BB0_2 Depth=1
	s_or_b32 exec_lo, exec_lo, s0
	v_mul_lo_u32 v9, v46, s24
	v_mul_lo_u32 v10, v45, s25
	s_load_dwordx2 s[0:1], s[6:7], 0x0
	v_mad_u64_u32 v[4:5], null, v45, s24, 0
	s_load_dwordx2 s[24:25], s[2:3], 0x0
	s_add_u32 s22, s22, 1
	s_addc_u32 s23, s23, 0
	s_add_u32 s2, s2, 8
	s_addc_u32 s3, s3, 0
	s_add_u32 s6, s6, 8
	v_add3_u32 v5, v5, v10, v9
	v_sub_co_u32 v4, vcc_lo, v7, v4
	s_addc_u32 s7, s7, 0
	s_add_u32 s20, s20, 8
	v_sub_co_ci_u32_e32 v5, vcc_lo, v8, v5, vcc_lo
	s_addc_u32 s21, s21, 0
	s_waitcnt lgkmcnt(0)
	v_mul_lo_u32 v7, s0, v5
	v_mul_lo_u32 v8, s1, v4
	v_mad_u64_u32 v[1:2], null, s0, v4, v[1:2]
	v_mul_lo_u32 v5, s24, v5
	v_mul_lo_u32 v9, s25, v4
	v_mad_u64_u32 v[42:43], null, s24, v4, v[42:43]
	v_cmp_ge_u64_e64 s0, s[22:23], s[14:15]
	v_add3_u32 v2, v8, v2, v7
	v_add3_u32 v43, v9, v43, v5
	s_and_b32 vcc_lo, exec_lo, s0
	s_cbranch_vccnz .LBB0_8
; %bb.7:                                ;   in Loop: Header=BB0_2 Depth=1
	v_mov_b32_e32 v7, v45
	v_mov_b32_e32 v8, v46
	s_branch .LBB0_2
.LBB0_8:
	s_load_dwordx2 s[0:1], s[4:5], 0x28
	v_mul_hi_u32 v3, 0x1999999a, v0
	s_lshl_b64 s[4:5], s[14:15], 3
                                        ; implicit-def: $vgpr44
	s_add_u32 s2, s18, s4
	s_addc_u32 s3, s19, s5
	s_waitcnt lgkmcnt(0)
	v_cmp_gt_u64_e32 vcc_lo, s[0:1], v[45:46]
	v_cmp_le_u64_e64 s0, s[0:1], v[45:46]
	s_and_saveexec_b32 s1, s0
	s_xor_b32 s0, exec_lo, s1
; %bb.9:
	v_mul_u32_u24_e32 v1, 10, v3
                                        ; implicit-def: $vgpr3
	v_sub_nc_u32_e32 v44, v0, v1
                                        ; implicit-def: $vgpr0
                                        ; implicit-def: $vgpr1_vgpr2
; %bb.10:
	s_or_saveexec_b32 s1, s0
                                        ; implicit-def: $vgpr40_vgpr41
                                        ; implicit-def: $vgpr32_vgpr33
                                        ; implicit-def: $vgpr36_vgpr37
                                        ; implicit-def: $vgpr28_vgpr29
                                        ; implicit-def: $vgpr24_vgpr25
                                        ; implicit-def: $vgpr4_vgpr5
	s_xor_b32 exec_lo, exec_lo, s1
	s_cbranch_execz .LBB0_12
; %bb.11:
	s_add_u32 s4, s16, s4
	s_addc_u32 s5, s17, s5
	v_lshlrev_b64 v[1:2], 4, v[1:2]
	s_load_dwordx2 s[4:5], s[4:5], 0x0
	s_waitcnt lgkmcnt(0)
	v_mul_lo_u32 v7, s5, v45
	v_mul_lo_u32 v8, s4, v46
	v_mad_u64_u32 v[4:5], null, s4, v45, 0
	v_add3_u32 v5, v5, v8, v7
	v_mul_u32_u24_e32 v7, 10, v3
	v_lshlrev_b64 v[3:4], 4, v[4:5]
	v_sub_nc_u32_e32 v44, v0, v7
	v_add_co_u32 v0, s0, s8, v3
	v_add_co_ci_u32_e64 v3, s0, s9, v4, s0
	v_lshlrev_b32_e32 v4, 4, v44
	v_add_co_u32 v0, s0, v0, v1
	v_add_co_ci_u32_e64 v1, s0, v3, v2, s0
	v_add_co_u32 v0, s0, v0, v4
	v_add_co_ci_u32_e64 v1, s0, 0, v1, s0
	s_clause 0x5
	global_load_dwordx4 v[2:5], v[0:1], off
	global_load_dwordx4 v[22:25], v[0:1], off offset:160
	global_load_dwordx4 v[26:29], v[0:1], off offset:320
	;; [unrolled: 1-line block ×5, first 2 shown]
.LBB0_12:
	s_or_b32 exec_lo, exec_lo, s1
	s_waitcnt vmcnt(0)
	v_add_f64 v[0:1], v[38:39], v[34:35]
	v_add_f64 v[7:8], v[40:41], v[36:37]
	v_add_f64 v[9:10], v[36:37], -v[40:41]
	s_mov_b32 s4, 0xe8584caa
	s_mov_b32 s5, 0x3febb67a
	;; [unrolled: 1-line block ×4, first 2 shown]
	v_add_f64 v[11:12], v[30:31], v[26:27]
	v_add_f64 v[13:14], v[34:35], -v[38:39]
	v_add_f64 v[15:16], v[34:35], v[22:23]
	s_load_dwordx2 s[2:3], s[2:3], 0x0
	v_cmp_gt_u32_e64 s0, 6, v44
	v_lshlrev_b32_e32 v55, 3, v44
                                        ; implicit-def: $vgpr47_vgpr48
	v_fma_f64 v[0:1], v[0:1], -0.5, v[22:23]
	v_fma_f64 v[7:8], v[7:8], -0.5, v[24:25]
                                        ; implicit-def: $vgpr22_vgpr23
	v_add_f64 v[15:16], v[38:39], v[15:16]
	v_fma_f64 v[51:52], v[9:10], s[4:5], v[0:1]
	v_fma_f64 v[49:50], v[9:10], s[6:7], v[0:1]
	v_add_f64 v[0:1], v[26:27], v[2:3]
	v_add_f64 v[9:10], v[28:29], -v[32:33]
	v_fma_f64 v[2:3], v[11:12], -0.5, v[2:3]
	v_fma_f64 v[34:35], v[13:14], s[6:7], v[7:8]
	v_fma_f64 v[53:54], v[13:14], s[4:5], v[7:8]
	v_mul_f64 v[7:8], v[51:52], 0.5
	v_mul_f64 v[11:12], v[49:50], -0.5
	v_add_f64 v[13:14], v[30:31], v[0:1]
	v_mul_hi_u32 v0, 0xaaaaaaab, v6
	v_fma_f64 v[17:18], v[9:10], s[4:5], v[2:3]
	v_fma_f64 v[19:20], v[9:10], s[6:7], v[2:3]
	v_lshrrev_b32_e32 v0, 2, v0
	v_mul_lo_u32 v21, v0, 6
	v_fma_f64 v[7:8], v[34:35], s[4:5], v[7:8]
	v_fma_f64 v[10:11], v[53:54], s[4:5], v[11:12]
	v_add_f64 v[0:1], v[15:16], v[13:14]
	v_add_f64 v[14:15], v[13:14], -v[15:16]
	v_sub_nc_u32_e32 v16, v6, v21
	v_add_f64 v[2:3], v[17:18], v[7:8]
	v_add_f64 v[12:13], v[19:20], v[10:11]
	v_add_f64 v[8:9], v[17:18], -v[7:8]
	v_add_f64 v[10:11], v[19:20], -v[10:11]
	v_mul_u32_u24_e32 v7, 6, v44
                                        ; implicit-def: $vgpr18_vgpr19
	v_lshl_add_u32 v6, v7, 3, 0
	v_mul_u32_u24_e32 v7, 60, v16
	v_lshl_add_u32 v38, v7, 3, v6
	v_lshlrev_b32_e32 v56, 3, v7
	ds_write_b128 v38, v[0:3]
	ds_write_b128 v38, v[12:15] offset:16
	ds_write_b128 v38, v[8:11] offset:32
	s_waitcnt lgkmcnt(0)
	s_barrier
	buffer_gl0_inv
	s_and_saveexec_b32 s1, s0
	s_cbranch_execz .LBB0_14
; %bb.13:
	v_mul_i32_i24_e32 v0, 0xffffffd8, v44
	v_add3_u32 v2, v6, v0, v56
	v_add3_u32 v0, 0, v56, v55
	ds_read2_b64 v[20:23], v2 offset0:30 offset1:36
	ds_read2_b64 v[6:9], v2 offset0:18 offset1:24
	;; [unrolled: 1-line block ×4, first 2 shown]
	ds_read_b64 v[0:1], v0
	ds_read_b64 v[47:48], v2 offset:432
	s_waitcnt lgkmcnt(3)
	v_mov_b32_e32 v12, v59
	v_mov_b32_e32 v10, v20
	;; [unrolled: 1-line block ×8, first 2 shown]
.LBB0_14:
	s_or_b32 exec_lo, exec_lo, s1
	v_add_f64 v[6:7], v[32:33], v[28:29]
	v_add_f64 v[20:21], v[28:29], v[4:5]
	v_add_f64 v[26:27], v[26:27], -v[30:31]
	v_add_f64 v[24:25], v[36:37], v[24:25]
	v_mul_f64 v[28:29], v[51:52], s[6:7]
	v_mul_f64 v[30:31], v[53:54], -0.5
	s_waitcnt lgkmcnt(0)
	s_barrier
	buffer_gl0_inv
	v_fma_f64 v[4:5], v[6:7], -0.5, v[4:5]
	v_add_f64 v[6:7], v[32:33], v[20:21]
	v_add_f64 v[20:21], v[40:41], v[24:25]
	v_fma_f64 v[24:25], v[34:35], 0.5, v[28:29]
	v_fma_f64 v[32:33], v[49:50], s[6:7], v[30:31]
	v_fma_f64 v[34:35], v[26:27], s[6:7], v[4:5]
	;; [unrolled: 1-line block ×3, first 2 shown]
	v_add_f64 v[4:5], v[20:21], v[6:7]
	v_add_f64 v[30:31], v[6:7], -v[20:21]
                                        ; implicit-def: $vgpr20_vgpr21
	v_add_f64 v[6:7], v[34:35], v[24:25]
	v_add_f64 v[28:29], v[26:27], v[32:33]
	v_add_f64 v[24:25], v[34:35], -v[24:25]
	v_add_f64 v[26:27], v[26:27], -v[32:33]
                                        ; implicit-def: $vgpr34_vgpr35
	ds_write_b128 v38, v[4:7]
	ds_write_b128 v38, v[28:31] offset:16
	ds_write_b128 v38, v[24:27] offset:32
	s_waitcnt lgkmcnt(0)
	s_barrier
	buffer_gl0_inv
                                        ; implicit-def: $vgpr38_vgpr39
	s_and_saveexec_b32 s1, s0
	s_cbranch_execz .LBB0_16
; %bb.15:
	v_add3_u32 v6, 0, v55, v56
	v_add3_u32 v4, 0, v56, v55
	ds_read2_b64 v[36:39], v6 offset0:30 offset1:36
	ds_read2_b64 v[28:31], v6 offset0:18 offset1:24
	;; [unrolled: 1-line block ×4, first 2 shown]
	ds_read_b64 v[4:5], v4
	ds_read_b64 v[20:21], v6 offset:432
	s_waitcnt lgkmcnt(3)
	v_mov_b32_e32 v6, v49
	v_mov_b32_e32 v26, v36
	;; [unrolled: 1-line block ×10, first 2 shown]
.LBB0_16:
	s_or_b32 exec_lo, exec_lo, s1
	v_cmp_gt_u32_e64 s1, 6, v44
	s_and_b32 s1, vcc_lo, s1
	s_and_saveexec_b32 s4, s1
	s_cbranch_execz .LBB0_18
; %bb.17:
	v_add_nc_u32_e32 v36, -6, v44
	v_mov_b32_e32 v41, 0
	s_mov_b32 s4, 0x4755a5e
	s_mov_b32 s5, 0x3fe2cf23
	;; [unrolled: 1-line block ×3, first 2 shown]
	v_cndmask_b32_e64 v36, v36, v44, s0
	s_mov_b32 s0, 0x134454ff
	s_mov_b32 s1, 0x3fee6f0e
	;; [unrolled: 1-line block ×4, first 2 shown]
	v_mul_i32_i24_e32 v40, 9, v36
	s_mov_b32 s9, 0x3fd3c6ef
	v_lshlrev_b64 v[42:43], 4, v[42:43]
	v_lshlrev_b64 v[36:37], 4, v[40:41]
	v_add_co_u32 v65, vcc_lo, s12, v36
	v_add_co_ci_u32_e32 v66, vcc_lo, s13, v37, vcc_lo
	s_mov_b32 s12, 0x9b97f4a8
	s_mov_b32 s13, 0x3fe9e377
	s_clause 0x3
	global_load_dwordx4 v[49:52], v[65:66], off offset:80
	global_load_dwordx4 v[53:56], v[65:66], off offset:16
	;; [unrolled: 1-line block ×4, first 2 shown]
	s_waitcnt vmcnt(3)
	v_mul_f64 v[67:68], v[38:39], v[49:50]
	v_mul_f64 v[69:70], v[38:39], v[51:52]
	global_load_dwordx4 v[36:39], v[65:66], off offset:48
	s_waitcnt vmcnt(2)
	v_mul_f64 v[71:72], v[30:31], v[59:60]
	v_fma_f64 v[67:68], v[22:23], v[51:52], v[67:68]
	v_fma_f64 v[22:23], v[22:23], v[49:50], -v[69:70]
	global_load_dwordx4 v[49:52], v[65:66], off
	v_mul_f64 v[69:70], v[28:29], v[53:54]
	v_mul_f64 v[28:29], v[28:29], v[55:56]
	v_fma_f64 v[69:70], v[12:13], v[55:56], v[69:70]
	v_fma_f64 v[73:74], v[12:13], v[53:54], -v[28:29]
	v_mul_f64 v[28:29], v[14:15], v[59:60]
	v_fma_f64 v[59:60], v[14:15], v[57:58], -v[71:72]
	global_load_dwordx4 v[12:15], v[65:66], off offset:112
	v_mul_lo_u32 v71, s2, v46
	v_fma_f64 v[57:58], v[30:31], v[57:58], v[28:29]
	s_clause 0x1
	global_load_dwordx4 v[28:31], v[65:66], off offset:96
	global_load_dwordx4 v[53:56], v[65:66], off offset:128
	s_waitcnt vmcnt(4)
	v_mul_f64 v[65:66], v[24:25], v[36:37]
	v_mul_f64 v[24:25], v[24:25], v[38:39]
	v_fma_f64 v[38:39], v[8:9], v[38:39], v[65:66]
	v_fma_f64 v[8:9], v[8:9], v[36:37], -v[24:25]
	v_mul_f64 v[24:25], v[26:27], v[63:64]
	v_mul_f64 v[36:37], v[10:11], v[63:64]
	v_fma_f64 v[10:11], v[10:11], v[61:62], -v[24:25]
	v_fma_f64 v[26:27], v[26:27], v[61:62], v[36:37]
	s_waitcnt vmcnt(2) lgkmcnt(2)
	v_mul_f64 v[24:25], v[34:35], v[12:13]
	v_mul_f64 v[34:35], v[34:35], v[14:15]
	s_waitcnt vmcnt(1)
	v_mul_f64 v[36:37], v[32:33], v[30:31]
	s_waitcnt vmcnt(0) lgkmcnt(0)
	v_mul_f64 v[61:62], v[20:21], v[55:56]
	v_mul_f64 v[30:31], v[16:17], v[30:31]
	v_mul_f64 v[55:56], v[47:48], v[55:56]
	v_fma_f64 v[14:15], v[18:19], v[14:15], v[24:25]
	v_fma_f64 v[12:13], v[18:19], v[12:13], -v[34:35]
	v_add_f64 v[63:64], v[57:58], -v[26:27]
	v_add_f64 v[75:76], v[26:27], -v[57:58]
	v_fma_f64 v[16:17], v[16:17], v[28:29], -v[36:37]
	v_fma_f64 v[18:19], v[47:48], v[53:54], -v[61:62]
	v_fma_f64 v[24:25], v[32:33], v[28:29], v[30:31]
	v_fma_f64 v[20:21], v[20:21], v[53:54], v[55:56]
	v_mul_f64 v[28:29], v[6:7], v[51:52]
	v_mul_f64 v[30:31], v[2:3], v[51:52]
	v_mul_lo_u32 v48, s3, v45
	v_add_f64 v[32:33], v[38:39], v[67:68]
	v_add_f64 v[34:35], v[69:70], v[14:15]
	v_mad_u64_u32 v[36:37], null, s2, v45, 0
	v_add_f64 v[46:47], v[8:9], v[22:23]
	v_add_f64 v[51:52], v[73:74], v[12:13]
	v_mov_b32_e32 v45, v41
	v_add_f64 v[40:41], v[69:70], -v[38:39]
	v_add_f64 v[53:54], v[14:15], -v[67:68]
	;; [unrolled: 1-line block ×3, first 2 shown]
	v_add3_u32 v37, v37, v71, v48
	v_add_f64 v[71:72], v[10:11], -v[59:60]
	s_mov_b32 s3, 0xbfee6f0e
	s_mov_b32 s2, s0
	v_lshlrev_b64 v[44:45], 4, v[44:45]
	v_lshlrev_b64 v[36:37], 4, v[36:37]
	v_add_f64 v[61:62], v[18:19], -v[16:17]
	v_add_f64 v[65:66], v[20:21], -v[24:25]
	v_fma_f64 v[2:3], v[2:3], v[49:50], -v[28:29]
	v_fma_f64 v[6:7], v[6:7], v[49:50], v[30:31]
	v_add_f64 v[28:29], v[4:5], v[69:70]
	v_add_f64 v[30:31], v[0:1], v[73:74]
	v_add_f64 v[48:49], v[38:39], -v[69:70]
	v_fma_f64 v[32:33], v[32:33], -0.5, v[4:5]
	v_fma_f64 v[4:5], v[34:35], -0.5, v[4:5]
	v_add_f64 v[34:35], v[67:68], -v[14:15]
	v_fma_f64 v[46:47], v[46:47], -0.5, v[0:1]
	v_fma_f64 v[0:1], v[51:52], -0.5, v[0:1]
	v_add_f64 v[50:51], v[16:17], -v[18:19]
	v_add_f64 v[40:41], v[40:41], v[53:54]
	v_add_f64 v[52:53], v[24:25], -v[20:21]
	v_add_f64 v[69:70], v[69:70], -v[14:15]
	v_add_f64 v[54:55], v[55:56], v[61:62]
	v_add_f64 v[61:62], v[73:74], -v[8:9]
	v_add_f64 v[63:64], v[63:64], v[65:66]
	;; [unrolled: 2-line block ×4, first 2 shown]
	v_add_f64 v[34:35], v[48:49], v[34:35]
	v_add_f64 v[48:49], v[8:9], -v[73:74]
	v_add_f64 v[8:9], v[8:9], -v[22:23]
	v_add_f64 v[50:51], v[71:72], v[50:51]
	v_add_f64 v[71:72], v[22:23], -v[12:13]
	v_add_f64 v[52:53], v[75:76], v[52:53]
	v_add_f64 v[75:76], v[10:11], v[16:17]
	v_add_f64 v[73:74], v[73:74], -v[12:13]
	v_add_f64 v[61:62], v[61:62], v[65:66]
	v_add_f64 v[65:66], v[59:60], v[18:19]
	;; [unrolled: 1-line block ×7, first 2 shown]
	v_fma_f64 v[75:76], v[75:76], -0.5, v[2:3]
	v_add_f64 v[59:60], v[59:60], -v[18:19]
	v_fma_f64 v[2:3], v[65:66], -0.5, v[2:3]
	v_add_f64 v[65:66], v[57:58], v[20:21]
	v_fma_f64 v[67:68], v[67:68], -0.5, v[6:7]
	v_add_f64 v[14:15], v[14:15], v[28:29]
	v_add_f64 v[12:13], v[12:13], v[22:23]
	;; [unrolled: 1-line block ×3, first 2 shown]
	v_add_f64 v[10:11], v[10:11], -v[16:17]
	v_fma_f64 v[65:66], v[65:66], -0.5, v[6:7]
	v_add_f64 v[6:7], v[57:58], v[6:7]
	v_add_f64 v[56:57], v[57:58], -v[20:21]
	v_fma_f64 v[79:80], v[59:60], s[0:1], v[67:68]
	v_fma_f64 v[67:68], v[59:60], s[2:3], v[67:68]
	v_add_f64 v[16:17], v[16:17], v[71:72]
	v_fma_f64 v[77:78], v[10:11], s[2:3], v[65:66]
	v_fma_f64 v[65:66], v[10:11], s[0:1], v[65:66]
	v_add_f64 v[6:7], v[26:27], v[6:7]
	v_add_f64 v[26:27], v[26:27], -v[24:25]
	v_fma_f64 v[81:82], v[56:57], s[2:3], v[75:76]
	v_fma_f64 v[75:76], v[56:57], s[0:1], v[75:76]
	v_add_f64 v[16:17], v[18:19], v[16:17]
	v_fma_f64 v[77:78], v[59:60], s[4:5], v[77:78]
	v_fma_f64 v[59:60], v[59:60], s[6:7], v[65:66]
	v_add_f64 v[6:7], v[24:25], v[6:7]
	;; [unrolled: 3-line block ×3, first 2 shown]
	v_fma_f64 v[65:66], v[56:57], s[6:7], v[65:66]
	v_fma_f64 v[2:3], v[56:57], s[4:5], v[2:3]
	;; [unrolled: 1-line block ×24, first 2 shown]
	v_mul_f64 v[71:72], v[75:76], s[8:9]
	v_fma_f64 v[24:25], v[73:74], s[4:5], v[50:51]
	v_mul_f64 v[50:51], v[56:57], s[12:13]
	v_fma_f64 v[32:33], v[38:39], s[6:7], v[54:55]
	v_fma_f64 v[28:29], v[38:39], s[4:5], v[46:47]
	v_mul_f64 v[38:39], v[26:27], s[6:7]
	v_mul_f64 v[46:47], v[10:11], s[4:5]
	v_fma_f64 v[4:5], v[73:74], s[6:7], v[4:5]
	v_mul_f64 v[54:55], v[67:68], s[12:13]
	v_fma_f64 v[58:59], v[69:70], s[4:5], v[63:64]
	v_fma_f64 v[0:1], v[69:70], s[6:7], v[0:1]
	v_mul_f64 v[63:64], v[2:3], s[2:3]
	v_mul_f64 v[69:70], v[52:53], s[0:1]
	;; [unrolled: 1-line block ×3, first 2 shown]
	v_fma_f64 v[18:19], v[40:41], s[8:9], v[30:31]
	v_fma_f64 v[30:31], v[40:41], s[8:9], v[8:9]
	;; [unrolled: 1-line block ×3, first 2 shown]
	v_fma_f64 v[22:23], v[67:68], s[6:7], -v[50:51]
	v_fma_f64 v[50:51], v[65:66], s[2:3], -v[71:72]
	v_fma_f64 v[20:21], v[61:62], s[8:9], v[32:33]
	v_fma_f64 v[28:29], v[61:62], s[8:9], v[28:29]
	;; [unrolled: 1-line block ×5, first 2 shown]
	v_fma_f64 v[24:25], v[56:57], s[4:5], -v[54:55]
	v_fma_f64 v[38:39], v[48:49], s[8:9], v[58:59]
	v_fma_f64 v[40:41], v[48:49], s[8:9], v[0:1]
	;; [unrolled: 1-line block ×4, first 2 shown]
	v_fma_f64 v[52:53], v[75:76], s[0:1], -v[73:74]
	v_add_f64 v[2:3], v[14:15], -v[6:7]
	v_add_f64 v[6:7], v[14:15], v[6:7]
	v_add_f64 v[4:5], v[12:13], v[16:17]
	v_add_f64 v[0:1], v[12:13], -v[16:17]
	v_add_co_u32 v54, vcc_lo, s10, v36
	v_add_co_ci_u32_e32 v55, vcc_lo, s11, v37, vcc_lo
	v_add_f64 v[10:11], v[18:19], -v[22:23]
	v_add_f64 v[14:15], v[18:19], v[22:23]
	v_add_f64 v[18:19], v[30:31], v[32:33]
	;; [unrolled: 1-line block ×3, first 2 shown]
	v_add_f64 v[22:23], v[30:31], -v[32:33]
	v_add_f64 v[8:9], v[20:21], -v[24:25]
	v_add_f64 v[12:13], v[20:21], v[24:25]
	v_add_f64 v[20:21], v[28:29], -v[26:27]
	v_add_f64 v[26:27], v[34:35], v[46:47]
	v_add_f64 v[24:25], v[38:39], v[48:49]
	;; [unrolled: 1-line block ×4, first 2 shown]
	v_add_f64 v[34:35], v[34:35], -v[46:47]
	v_add_f64 v[32:33], v[38:39], -v[48:49]
	;; [unrolled: 1-line block ×4, first 2 shown]
	v_add_co_u32 v40, vcc_lo, v54, v42
	v_add_co_ci_u32_e32 v41, vcc_lo, v55, v43, vcc_lo
	v_add_co_u32 v40, vcc_lo, v40, v44
	v_add_co_ci_u32_e32 v41, vcc_lo, v41, v45, vcc_lo
	global_store_dwordx4 v[40:41], v[4:7], off
	global_store_dwordx4 v[40:41], v[0:3], off offset:480
	global_store_dwordx4 v[40:41], v[16:19], off offset:96
	;; [unrolled: 1-line block ×9, first 2 shown]
.LBB0_18:
	s_endpgm
	.section	.rodata,"a",@progbits
	.p2align	6, 0x0
	.amdhsa_kernel fft_rtc_fwd_len60_factors_6_10_wgs_60_tpt_10_halfLds_dp_op_CI_CI_unitstride_sbrr_dirReg
		.amdhsa_group_segment_fixed_size 0
		.amdhsa_private_segment_fixed_size 0
		.amdhsa_kernarg_size 104
		.amdhsa_user_sgpr_count 6
		.amdhsa_user_sgpr_private_segment_buffer 1
		.amdhsa_user_sgpr_dispatch_ptr 0
		.amdhsa_user_sgpr_queue_ptr 0
		.amdhsa_user_sgpr_kernarg_segment_ptr 1
		.amdhsa_user_sgpr_dispatch_id 0
		.amdhsa_user_sgpr_flat_scratch_init 0
		.amdhsa_user_sgpr_private_segment_size 0
		.amdhsa_wavefront_size32 1
		.amdhsa_uses_dynamic_stack 0
		.amdhsa_system_sgpr_private_segment_wavefront_offset 0
		.amdhsa_system_sgpr_workgroup_id_x 1
		.amdhsa_system_sgpr_workgroup_id_y 0
		.amdhsa_system_sgpr_workgroup_id_z 0
		.amdhsa_system_sgpr_workgroup_info 0
		.amdhsa_system_vgpr_workitem_id 0
		.amdhsa_next_free_vgpr 83
		.amdhsa_next_free_sgpr 27
		.amdhsa_reserve_vcc 1
		.amdhsa_reserve_flat_scratch 0
		.amdhsa_float_round_mode_32 0
		.amdhsa_float_round_mode_16_64 0
		.amdhsa_float_denorm_mode_32 3
		.amdhsa_float_denorm_mode_16_64 3
		.amdhsa_dx10_clamp 1
		.amdhsa_ieee_mode 1
		.amdhsa_fp16_overflow 0
		.amdhsa_workgroup_processor_mode 1
		.amdhsa_memory_ordered 1
		.amdhsa_forward_progress 0
		.amdhsa_shared_vgpr_count 0
		.amdhsa_exception_fp_ieee_invalid_op 0
		.amdhsa_exception_fp_denorm_src 0
		.amdhsa_exception_fp_ieee_div_zero 0
		.amdhsa_exception_fp_ieee_overflow 0
		.amdhsa_exception_fp_ieee_underflow 0
		.amdhsa_exception_fp_ieee_inexact 0
		.amdhsa_exception_int_div_zero 0
	.end_amdhsa_kernel
	.text
.Lfunc_end0:
	.size	fft_rtc_fwd_len60_factors_6_10_wgs_60_tpt_10_halfLds_dp_op_CI_CI_unitstride_sbrr_dirReg, .Lfunc_end0-fft_rtc_fwd_len60_factors_6_10_wgs_60_tpt_10_halfLds_dp_op_CI_CI_unitstride_sbrr_dirReg
                                        ; -- End function
	.section	.AMDGPU.csdata,"",@progbits
; Kernel info:
; codeLenInByte = 4116
; NumSgprs: 29
; NumVgprs: 83
; ScratchSize: 0
; MemoryBound: 1
; FloatMode: 240
; IeeeMode: 1
; LDSByteSize: 0 bytes/workgroup (compile time only)
; SGPRBlocks: 3
; VGPRBlocks: 10
; NumSGPRsForWavesPerEU: 29
; NumVGPRsForWavesPerEU: 83
; Occupancy: 10
; WaveLimiterHint : 1
; COMPUTE_PGM_RSRC2:SCRATCH_EN: 0
; COMPUTE_PGM_RSRC2:USER_SGPR: 6
; COMPUTE_PGM_RSRC2:TRAP_HANDLER: 0
; COMPUTE_PGM_RSRC2:TGID_X_EN: 1
; COMPUTE_PGM_RSRC2:TGID_Y_EN: 0
; COMPUTE_PGM_RSRC2:TGID_Z_EN: 0
; COMPUTE_PGM_RSRC2:TIDIG_COMP_CNT: 0
	.text
	.p2alignl 6, 3214868480
	.fill 48, 4, 3214868480
	.type	__hip_cuid_4d457c84d17a4d9d,@object ; @__hip_cuid_4d457c84d17a4d9d
	.section	.bss,"aw",@nobits
	.globl	__hip_cuid_4d457c84d17a4d9d
__hip_cuid_4d457c84d17a4d9d:
	.byte	0                               ; 0x0
	.size	__hip_cuid_4d457c84d17a4d9d, 1

	.ident	"AMD clang version 19.0.0git (https://github.com/RadeonOpenCompute/llvm-project roc-6.4.0 25133 c7fe45cf4b819c5991fe208aaa96edf142730f1d)"
	.section	".note.GNU-stack","",@progbits
	.addrsig
	.addrsig_sym __hip_cuid_4d457c84d17a4d9d
	.amdgpu_metadata
---
amdhsa.kernels:
  - .args:
      - .actual_access:  read_only
        .address_space:  global
        .offset:         0
        .size:           8
        .value_kind:     global_buffer
      - .offset:         8
        .size:           8
        .value_kind:     by_value
      - .actual_access:  read_only
        .address_space:  global
        .offset:         16
        .size:           8
        .value_kind:     global_buffer
      - .actual_access:  read_only
        .address_space:  global
        .offset:         24
        .size:           8
        .value_kind:     global_buffer
      - .actual_access:  read_only
        .address_space:  global
        .offset:         32
        .size:           8
        .value_kind:     global_buffer
      - .offset:         40
        .size:           8
        .value_kind:     by_value
      - .actual_access:  read_only
        .address_space:  global
        .offset:         48
        .size:           8
        .value_kind:     global_buffer
      - .actual_access:  read_only
        .address_space:  global
        .offset:         56
        .size:           8
        .value_kind:     global_buffer
      - .offset:         64
        .size:           4
        .value_kind:     by_value
      - .actual_access:  read_only
        .address_space:  global
        .offset:         72
        .size:           8
        .value_kind:     global_buffer
      - .actual_access:  read_only
        .address_space:  global
        .offset:         80
        .size:           8
        .value_kind:     global_buffer
      - .actual_access:  read_only
        .address_space:  global
        .offset:         88
        .size:           8
        .value_kind:     global_buffer
      - .actual_access:  write_only
        .address_space:  global
        .offset:         96
        .size:           8
        .value_kind:     global_buffer
    .group_segment_fixed_size: 0
    .kernarg_segment_align: 8
    .kernarg_segment_size: 104
    .language:       OpenCL C
    .language_version:
      - 2
      - 0
    .max_flat_workgroup_size: 60
    .name:           fft_rtc_fwd_len60_factors_6_10_wgs_60_tpt_10_halfLds_dp_op_CI_CI_unitstride_sbrr_dirReg
    .private_segment_fixed_size: 0
    .sgpr_count:     29
    .sgpr_spill_count: 0
    .symbol:         fft_rtc_fwd_len60_factors_6_10_wgs_60_tpt_10_halfLds_dp_op_CI_CI_unitstride_sbrr_dirReg.kd
    .uniform_work_group_size: 1
    .uses_dynamic_stack: false
    .vgpr_count:     83
    .vgpr_spill_count: 0
    .wavefront_size: 32
    .workgroup_processor_mode: 1
amdhsa.target:   amdgcn-amd-amdhsa--gfx1030
amdhsa.version:
  - 1
  - 2
...

	.end_amdgpu_metadata
